;; amdgpu-corpus repo=ROCm/rocFFT kind=compiled arch=gfx1201 opt=O3
	.text
	.amdgcn_target "amdgcn-amd-amdhsa--gfx1201"
	.amdhsa_code_object_version 6
	.protected	fft_rtc_back_len200_factors_10_2_10_wgs_200_tpt_20_dim3_dp_ip_CI_sbcc_twdbase8_3step_dirReg ; -- Begin function fft_rtc_back_len200_factors_10_2_10_wgs_200_tpt_20_dim3_dp_ip_CI_sbcc_twdbase8_3step_dirReg
	.globl	fft_rtc_back_len200_factors_10_2_10_wgs_200_tpt_20_dim3_dp_ip_CI_sbcc_twdbase8_3step_dirReg
	.p2align	8
	.type	fft_rtc_back_len200_factors_10_2_10_wgs_200_tpt_20_dim3_dp_ip_CI_sbcc_twdbase8_3step_dirReg,@function
fft_rtc_back_len200_factors_10_2_10_wgs_200_tpt_20_dim3_dp_ip_CI_sbcc_twdbase8_3step_dirReg: ; @fft_rtc_back_len200_factors_10_2_10_wgs_200_tpt_20_dim3_dp_ip_CI_sbcc_twdbase8_3step_dirReg
; %bb.0:
	s_load_b128 s[8:11], s[0:1], 0x10
	s_mov_b32 s3, 0
	s_mov_b32 s4, 0x99986000
	s_movk_i32 s5, 0x59
	s_mov_b32 s2, s3
	s_delay_alu instid0(SALU_CYCLE_1) | instskip(NEXT) | instid1(SALU_CYCLE_1)
	s_add_nc_u64 s[4:5], s[2:3], s[4:5]
	s_add_co_i32 s5, s5, 0x19999940
	s_delay_alu instid0(SALU_CYCLE_1) | instskip(NEXT) | instid1(SALU_CYCLE_1)
	s_mul_u64 s[6:7], s[4:5], -10
	s_mul_hi_u32 s13, s4, s7
	s_mul_i32 s12, s4, s7
	s_mul_hi_u32 s2, s4, s6
	s_mul_i32 s15, s5, s6
	s_add_nc_u64 s[12:13], s[2:3], s[12:13]
	s_mul_hi_u32 s14, s5, s6
	s_mul_hi_u32 s16, s5, s7
	s_add_co_u32 s2, s12, s15
	s_wait_kmcnt 0x0
	s_load_b64 s[28:29], s[8:9], 0x8
	s_add_co_ci_u32 s2, s13, s14
	s_mul_i32 s6, s5, s7
	s_add_co_ci_u32 s7, s16, 0
	s_delay_alu instid0(SALU_CYCLE_1) | instskip(NEXT) | instid1(SALU_CYCLE_1)
	s_add_nc_u64 s[6:7], s[2:3], s[6:7]
	v_add_co_u32 v1, s2, s4, s6
	s_delay_alu instid0(VALU_DEP_1) | instskip(SKIP_1) | instid1(VALU_DEP_1)
	s_cmp_lg_u32 s2, 0
	s_add_co_ci_u32 s12, s5, s7
	v_readfirstlane_b32 s13, v1
	s_wait_kmcnt 0x0
	s_add_nc_u64 s[4:5], s[28:29], -1
	s_wait_alu 0xfffe
	s_mul_hi_u32 s7, s4, s12
	s_mul_i32 s6, s4, s12
	s_mul_hi_u32 s2, s4, s13
	s_mul_hi_u32 s15, s5, s13
	s_mul_i32 s13, s5, s13
	s_wait_alu 0xfffe
	s_add_nc_u64 s[6:7], s[2:3], s[6:7]
	s_mul_hi_u32 s14, s5, s12
	s_wait_alu 0xfffe
	s_add_co_u32 s2, s6, s13
	s_add_co_ci_u32 s2, s7, s15
	s_mul_i32 s12, s5, s12
	s_add_co_ci_u32 s13, s14, 0
	s_delay_alu instid0(SALU_CYCLE_1) | instskip(SKIP_2) | instid1(SALU_CYCLE_1)
	s_add_nc_u64 s[6:7], s[2:3], s[12:13]
	s_wait_alu 0xfffe
	s_mul_u64 s[12:13], s[6:7], 10
	v_sub_co_u32 v1, s2, s4, s12
	s_delay_alu instid0(VALU_DEP_1) | instskip(SKIP_1) | instid1(VALU_DEP_1)
	s_cmp_lg_u32 s2, 0
	s_sub_co_ci_u32 s14, s5, s13
	v_sub_co_u32 v2, s4, v1, 10
	s_delay_alu instid0(VALU_DEP_1) | instskip(SKIP_2) | instid1(VALU_DEP_2)
	s_cmp_lg_u32 s4, 0
	v_readfirstlane_b32 s15, v1
	s_sub_co_ci_u32 s12, s14, 0
	v_readfirstlane_b32 s2, v2
	s_add_nc_u64 s[4:5], s[6:7], 1
	s_delay_alu instid0(VALU_DEP_1)
	s_cmp_gt_u32 s2, 9
	s_cselect_b32 s2, -1, 0
	s_wait_alu 0xfffe
	s_cmp_eq_u32 s12, 0
	s_add_nc_u64 s[12:13], s[6:7], 2
	s_cselect_b32 s2, s2, -1
	s_delay_alu instid0(SALU_CYCLE_1)
	s_cmp_lg_u32 s2, 0
	s_wait_alu 0xfffe
	s_cselect_b32 s2, s12, s4
	s_cselect_b32 s4, s13, s5
	s_cmp_gt_u32 s15, 9
	s_cselect_b32 s5, -1, 0
	s_cmp_eq_u32 s14, 0
	s_mov_b64 s[14:15], 0
	s_wait_alu 0xfffe
	s_cselect_b32 s5, s5, -1
	s_wait_alu 0xfffe
	s_cmp_lg_u32 s5, 0
	s_cselect_b32 s5, s4, s7
	s_cselect_b32 s4, s2, s6
	s_mov_b32 s2, ttmp9
	s_wait_alu 0xfffe
	s_add_nc_u64 s[12:13], s[4:5], 1
	s_wait_alu 0xfffe
	v_cmp_lt_u64_e64 s4, s[2:3], s[12:13]
	s_delay_alu instid0(VALU_DEP_1)
	s_and_b32 vcc_lo, exec_lo, s4
	s_cbranch_vccnz .LBB0_2
; %bb.1:
	v_cvt_f32_u32_e32 v1, s12
	s_sub_co_i32 s5, 0, s12
	s_mov_b32 s15, s3
	s_delay_alu instid0(VALU_DEP_1) | instskip(NEXT) | instid1(TRANS32_DEP_1)
	v_rcp_iflag_f32_e32 v1, v1
	v_mul_f32_e32 v1, 0x4f7ffffe, v1
	s_delay_alu instid0(VALU_DEP_1) | instskip(NEXT) | instid1(VALU_DEP_1)
	v_cvt_u32_f32_e32 v1, v1
	v_readfirstlane_b32 s4, v1
	s_wait_alu 0xfffe
	s_delay_alu instid0(VALU_DEP_1)
	s_mul_i32 s5, s5, s4
	s_wait_alu 0xfffe
	s_mul_hi_u32 s5, s4, s5
	s_wait_alu 0xfffe
	s_add_co_i32 s4, s4, s5
	s_wait_alu 0xfffe
	s_mul_hi_u32 s4, s2, s4
	s_wait_alu 0xfffe
	s_mul_i32 s5, s4, s12
	s_add_co_i32 s6, s4, 1
	s_wait_alu 0xfffe
	s_sub_co_i32 s5, s2, s5
	s_wait_alu 0xfffe
	s_sub_co_i32 s7, s5, s12
	s_cmp_ge_u32 s5, s12
	s_cselect_b32 s4, s6, s4
	s_wait_alu 0xfffe
	s_cselect_b32 s5, s7, s5
	s_add_co_i32 s6, s4, 1
	s_wait_alu 0xfffe
	s_cmp_ge_u32 s5, s12
	s_cselect_b32 s14, s6, s4
.LBB0_2:
	s_load_b64 s[18:19], s[8:9], 0x10
	s_mov_b64 s[8:9], s[14:15]
	s_wait_kmcnt 0x0
	v_cmp_lt_u64_e64 s4, s[14:15], s[18:19]
	s_delay_alu instid0(VALU_DEP_1)
	s_and_b32 vcc_lo, exec_lo, s4
	s_cbranch_vccnz .LBB0_4
; %bb.3:
	v_cvt_f32_u32_e32 v1, s18
	s_sub_co_i32 s5, 0, s18
	s_mov_b32 s9, 0
	s_delay_alu instid0(VALU_DEP_1) | instskip(NEXT) | instid1(TRANS32_DEP_1)
	v_rcp_iflag_f32_e32 v1, v1
	v_mul_f32_e32 v1, 0x4f7ffffe, v1
	s_delay_alu instid0(VALU_DEP_1) | instskip(NEXT) | instid1(VALU_DEP_1)
	v_cvt_u32_f32_e32 v1, v1
	v_readfirstlane_b32 s4, v1
	s_wait_alu 0xfffe
	s_delay_alu instid0(VALU_DEP_1)
	s_mul_i32 s5, s5, s4
	s_wait_alu 0xfffe
	s_mul_hi_u32 s5, s4, s5
	s_wait_alu 0xfffe
	s_add_co_i32 s4, s4, s5
	s_wait_alu 0xfffe
	s_mul_hi_u32 s4, s14, s4
	s_wait_alu 0xfffe
	s_mul_i32 s4, s4, s18
	s_wait_alu 0xfffe
	s_sub_co_i32 s4, s14, s4
	s_wait_alu 0xfffe
	s_sub_co_i32 s5, s4, s18
	s_cmp_ge_u32 s4, s18
	s_wait_alu 0xfffe
	s_cselect_b32 s4, s5, s4
	s_wait_alu 0xfffe
	s_sub_co_i32 s5, s4, s18
	s_cmp_ge_u32 s4, s18
	s_wait_alu 0xfffe
	s_cselect_b32 s8, s5, s4
.LBB0_4:
	s_clause 0x1
	s_load_b128 s[4:7], s[10:11], 0x0
	s_load_b64 s[16:17], s[10:11], 0x10
	s_mul_u64 s[20:21], s[18:19], s[12:13]
	s_delay_alu instid0(SALU_CYCLE_1) | instskip(NEXT) | instid1(VALU_DEP_1)
	v_cmp_lt_u64_e64 s18, s[2:3], s[20:21]
	s_and_b32 vcc_lo, exec_lo, s18
	s_mov_b64 s[18:19], 0
	s_cbranch_vccnz .LBB0_6
; %bb.5:
	v_cvt_f32_u32_e32 v1, s20
	s_sub_co_i32 s19, 0, s20
	s_delay_alu instid0(VALU_DEP_1) | instskip(NEXT) | instid1(TRANS32_DEP_1)
	v_rcp_iflag_f32_e32 v1, v1
	v_mul_f32_e32 v1, 0x4f7ffffe, v1
	s_delay_alu instid0(VALU_DEP_1) | instskip(NEXT) | instid1(VALU_DEP_1)
	v_cvt_u32_f32_e32 v1, v1
	v_readfirstlane_b32 s18, v1
	s_wait_alu 0xfffe
	s_delay_alu instid0(VALU_DEP_1)
	s_mul_i32 s19, s19, s18
	s_wait_alu 0xfffe
	s_mul_hi_u32 s19, s18, s19
	s_wait_alu 0xfffe
	s_add_co_i32 s18, s18, s19
	s_wait_alu 0xfffe
	s_mul_hi_u32 s18, s2, s18
	s_wait_alu 0xfffe
	s_mul_i32 s19, s18, s20
	s_add_co_i32 s21, s18, 1
	s_wait_alu 0xfffe
	s_sub_co_i32 s19, s2, s19
	s_wait_alu 0xfffe
	s_sub_co_i32 s22, s19, s20
	s_cmp_ge_u32 s19, s20
	s_cselect_b32 s18, s21, s18
	s_cselect_b32 s19, s22, s19
	s_wait_alu 0xfffe
	s_add_co_i32 s21, s18, 1
	s_cmp_ge_u32 s19, s20
	s_mov_b32 s19, 0
	s_wait_alu 0xfffe
	s_cselect_b32 s18, s21, s18
.LBB0_6:
	v_mul_u32_u24_e32 v1, 0x199a, v0
	s_load_b64 s[10:11], s[10:11], 0x18
	s_mul_u64 s[12:13], s[14:15], s[12:13]
	s_wait_kmcnt 0x0
	s_mul_u64 s[8:9], s[16:17], s[8:9]
	s_wait_alu 0xfffe
	s_sub_nc_u64 s[12:13], s[2:3], s[12:13]
	v_lshrrev_b32_e32 v43, 16, v1
	s_clause 0x1
	s_load_b64 s[26:27], s[0:1], 0x0
	s_load_b64 s[2:3], s[0:1], 0x50
	s_mul_u64 s[12:13], s[12:13], 10
	s_wait_alu 0xfffe
	s_mul_u64 s[14:15], s[6:7], s[12:13]
	v_mul_lo_u16 v1, v43, 10
	s_add_nc_u64 s[16:17], s[12:13], 10
	s_wait_alu 0xfffe
	s_add_nc_u64 s[8:9], s[8:9], s[14:15]
	v_cmp_gt_u64_e64 s14, s[16:17], s[28:29]
	v_cmp_le_u64_e64 s30, s[16:17], s[28:29]
	v_sub_nc_u16 v1, v0, v1
	s_delay_alu instid0(VALU_DEP_3) | instskip(NEXT) | instid1(VALU_DEP_1)
	s_and_b32 vcc_lo, exec_lo, s14
	v_and_b32_e32 v98, 0xffff, v1
	s_mul_u64 s[10:11], s[10:11], s[18:19]
	s_delay_alu instid0(SALU_CYCLE_1) | instskip(NEXT) | instid1(VALU_DEP_1)
	s_add_nc_u64 s[8:9], s[10:11], s[8:9]
	v_add_co_u32 v41, s12, s12, v98
	s_wait_alu 0xf1ff
	v_add_co_ci_u32_e64 v42, null, s13, 0, s12
	s_cbranch_vccz .LBB0_12
; %bb.7:
	s_mov_b32 s10, exec_lo
                                        ; implicit-def: $vgpr44
                                        ; implicit-def: $vgpr45
                                        ; implicit-def: $vgpr47
                                        ; implicit-def: $vgpr48
	s_delay_alu instid0(VALU_DEP_1)
	v_cmpx_le_u64_e64 s[28:29], v[41:42]
	s_xor_b32 s10, exec_lo, s10
; %bb.8:
	v_add_nc_u32_e32 v44, 20, v43
	v_add_nc_u32_e32 v45, 40, v43
	;; [unrolled: 1-line block ×4, first 2 shown]
; %bb.9:
	s_or_saveexec_b32 s10, s10
                                        ; implicit-def: $vgpr1_vgpr2
                                        ; implicit-def: $vgpr5_vgpr6
                                        ; implicit-def: $vgpr9_vgpr10
                                        ; implicit-def: $vgpr13_vgpr14
                                        ; implicit-def: $vgpr33_vgpr34
                                        ; implicit-def: $vgpr37_vgpr38
                                        ; implicit-def: $vgpr25_vgpr26
                                        ; implicit-def: $vgpr29_vgpr30
                                        ; implicit-def: $vgpr17_vgpr18
                                        ; implicit-def: $vgpr21_vgpr22
	s_delay_alu instid0(SALU_CYCLE_1)
	s_xor_b32 exec_lo, exec_lo, s10
	s_cbranch_execz .LBB0_11
; %bb.10:
	v_mad_co_u64_u32 v[1:2], null, s6, v98, 0
	v_mad_co_u64_u32 v[3:4], null, s4, v43, 0
	v_add_nc_u32_e32 v44, 20, v43
	s_lshl_b64 s[12:13], s[8:9], 4
	v_add_nc_u32_e32 v48, 0x50, v43
	s_wait_kmcnt 0x0
	s_wait_alu 0xfffe
	s_add_nc_u64 s[12:13], s[2:3], s[12:13]
	v_add_nc_u32_e32 v16, 0x64, v43
	v_add_nc_u32_e32 v28, 0x8c, v43
	v_mad_co_u64_u32 v[5:6], null, s7, v98, v[2:3]
	v_add_nc_u32_e32 v45, 40, v43
	v_mad_co_u64_u32 v[6:7], null, s4, v44, 0
	v_mad_co_u64_u32 v[17:18], null, s4, v48, 0
	;; [unrolled: 1-line block ×3, first 2 shown]
	v_mov_b32_e32 v2, v5
	v_mad_co_u64_u32 v[8:9], null, s5, v43, v[4:5]
	v_mad_co_u64_u32 v[9:10], null, s4, v45, 0
	v_add_nc_u32_e32 v47, 60, v43
	v_mov_b32_e32 v5, v7
	v_lshlrev_b64_e32 v[1:2], 4, v[1:2]
	v_or_b32_e32 v31, 0xa0, v43
	v_mov_b32_e32 v4, v8
	v_mad_co_u64_u32 v[11:12], null, s4, v47, 0
	v_mov_b32_e32 v7, v10
	v_mad_co_u64_u32 v[13:14], null, s5, v44, v[5:6]
	s_delay_alu instid0(VALU_DEP_4)
	v_lshlrev_b64_e32 v[3:4], 4, v[3:4]
	s_wait_alu 0xfffe
	v_add_co_u32 v32, vcc_lo, s12, v1
	v_add_co_ci_u32_e32 v33, vcc_lo, s13, v2, vcc_lo
	v_mad_co_u64_u32 v[1:2], null, s5, v45, v[7:8]
	v_mov_b32_e32 v2, v12
	s_delay_alu instid0(VALU_DEP_4)
	v_add_co_u32 v3, vcc_lo, v32, v3
	v_mov_b32_e32 v7, v13
	s_wait_alu 0xfffd
	v_add_co_ci_u32_e32 v4, vcc_lo, v33, v4, vcc_lo
	v_mov_b32_e32 v10, v1
	v_mad_co_u64_u32 v[12:13], null, s5, v47, v[2:3]
	v_lshlrev_b64_e32 v[5:6], 4, v[6:7]
	v_mov_b32_e32 v13, v18
	s_delay_alu instid0(VALU_DEP_4) | instskip(SKIP_1) | instid1(VALU_DEP_4)
	v_lshlrev_b64_e32 v[9:10], 4, v[9:10]
	v_add_nc_u32_e32 v34, 0xb4, v43
	v_add_co_u32 v5, vcc_lo, v32, v5
	v_lshlrev_b64_e32 v[11:12], 4, v[11:12]
	s_wait_alu 0xfffd
	v_add_co_ci_u32_e32 v6, vcc_lo, v33, v6, vcc_lo
	v_add_co_u32 v9, vcc_lo, v32, v9
	s_wait_alu 0xfffd
	v_add_co_ci_u32_e32 v10, vcc_lo, v33, v10, vcc_lo
	v_mad_co_u64_u32 v[13:14], null, s5, v48, v[13:14]
	v_add_co_u32 v14, vcc_lo, v32, v11
	v_mov_b32_e32 v11, v20
	s_wait_alu 0xfffd
	v_add_co_ci_u32_e32 v15, vcc_lo, v33, v12, vcc_lo
	s_clause 0x1
	global_load_b128 v[1:4], v[3:4], off
	global_load_b128 v[5:8], v[5:6], off
	v_mad_co_u64_u32 v[23:24], null, s5, v16, v[11:12]
	v_mad_co_u64_u32 v[24:25], null, s4, v28, 0
	v_add_nc_u32_e32 v26, 0x78, v43
	s_delay_alu instid0(VALU_DEP_3) | instskip(NEXT) | instid1(VALU_DEP_2)
	v_mov_b32_e32 v20, v23
	v_mad_co_u64_u32 v[21:22], null, s4, v26, 0
	s_delay_alu instid0(VALU_DEP_1) | instskip(SKIP_2) | instid1(VALU_DEP_2)
	v_mad_co_u64_u32 v[22:23], null, s5, v26, v[22:23]
	v_mov_b32_e32 v23, v25
	v_mad_co_u64_u32 v[26:27], null, s4, v31, 0
	v_mad_co_u64_u32 v[28:29], null, s5, v28, v[23:24]
	;; [unrolled: 1-line block ×3, first 2 shown]
	s_delay_alu instid0(VALU_DEP_3)
	v_dual_mov_b32 v18, v13 :: v_dual_mov_b32 v23, v27
	v_lshlrev_b64_e32 v[21:22], 4, v[21:22]
	s_clause 0x1
	global_load_b128 v[9:12], v[9:10], off
	global_load_b128 v[13:16], v[14:15], off
	v_mov_b32_e32 v25, v28
	v_lshlrev_b64_e32 v[17:18], 4, v[17:18]
	v_mad_co_u64_u32 v[27:28], null, s5, v31, v[23:24]
	v_mov_b32_e32 v23, v30
	v_lshlrev_b64_e32 v[19:20], 4, v[19:20]
	s_delay_alu instid0(VALU_DEP_4) | instskip(NEXT) | instid1(VALU_DEP_3)
	v_add_co_u32 v17, vcc_lo, v32, v17
	v_mad_co_u64_u32 v[30:31], null, s5, v34, v[23:24]
	s_wait_alu 0xfffd
	v_add_co_ci_u32_e32 v18, vcc_lo, v33, v18, vcc_lo
	s_delay_alu instid0(VALU_DEP_4)
	v_add_co_u32 v19, vcc_lo, v32, v19
	v_lshlrev_b64_e32 v[23:24], 4, v[24:25]
	s_wait_alu 0xfffd
	v_add_co_ci_u32_e32 v20, vcc_lo, v33, v20, vcc_lo
	v_add_co_u32 v21, vcc_lo, v32, v21
	v_lshlrev_b64_e32 v[25:26], 4, v[26:27]
	s_wait_alu 0xfffd
	v_add_co_ci_u32_e32 v22, vcc_lo, v33, v22, vcc_lo
	;; [unrolled: 4-line block ×3, first 2 shown]
	v_add_co_u32 v49, vcc_lo, v32, v25
	s_wait_alu 0xfffd
	v_add_co_ci_u32_e32 v50, vcc_lo, v33, v26, vcc_lo
	v_add_co_u32 v51, vcc_lo, v32, v27
	s_wait_alu 0xfffd
	v_add_co_ci_u32_e32 v52, vcc_lo, v33, v28, vcc_lo
	s_clause 0x5
	global_load_b128 v[33:36], v[17:18], off
	global_load_b128 v[37:40], v[19:20], off
	;; [unrolled: 1-line block ×6, first 2 shown]
.LBB0_11:
	s_or_b32 exec_lo, exec_lo, s10
	s_cbranch_execz .LBB0_13
	s_branch .LBB0_14
.LBB0_12:
                                        ; implicit-def: $vgpr1_vgpr2
                                        ; implicit-def: $vgpr5_vgpr6
                                        ; implicit-def: $vgpr9_vgpr10
                                        ; implicit-def: $vgpr13_vgpr14
                                        ; implicit-def: $vgpr33_vgpr34
                                        ; implicit-def: $vgpr37_vgpr38
                                        ; implicit-def: $vgpr25_vgpr26
                                        ; implicit-def: $vgpr29_vgpr30
                                        ; implicit-def: $vgpr17_vgpr18
                                        ; implicit-def: $vgpr21_vgpr22
                                        ; implicit-def: $vgpr44
                                        ; implicit-def: $vgpr45
                                        ; implicit-def: $vgpr47
                                        ; implicit-def: $vgpr48
.LBB0_13:
	s_wait_loadcnt 0x9
	v_mad_co_u64_u32 v[1:2], null, s6, v98, 0
	v_mad_co_u64_u32 v[3:4], null, s4, v43, 0
	v_add_nc_u32_e32 v44, 20, v43
	s_lshl_b64 s[10:11], s[8:9], 4
	v_add_nc_u32_e32 v48, 0x50, v43
	s_wait_kmcnt 0x0
	s_add_nc_u64 s[10:11], s[2:3], s[10:11]
	s_wait_loadcnt 0x6
	v_add_nc_u32_e32 v16, 0x64, v43
	s_wait_loadcnt 0x3
	v_add_nc_u32_e32 v28, 0x8c, v43
	v_mad_co_u64_u32 v[5:6], null, s7, v98, v[2:3]
	v_add_nc_u32_e32 v45, 40, v43
	v_mad_co_u64_u32 v[6:7], null, s4, v44, 0
	s_wait_loadcnt 0x1
	v_mad_co_u64_u32 v[17:18], null, s4, v48, 0
	v_mad_co_u64_u32 v[19:20], null, s4, v16, 0
	v_mov_b32_e32 v2, v5
	v_mad_co_u64_u32 v[8:9], null, s5, v43, v[4:5]
	v_mad_co_u64_u32 v[9:10], null, s4, v45, 0
	v_add_nc_u32_e32 v47, 60, v43
	v_mov_b32_e32 v5, v7
	v_lshlrev_b64_e32 v[1:2], 4, v[1:2]
	v_or_b32_e32 v31, 0xa0, v43
	v_mov_b32_e32 v4, v8
	v_mad_co_u64_u32 v[11:12], null, s4, v47, 0
	v_mov_b32_e32 v7, v10
	v_mad_co_u64_u32 v[13:14], null, s5, v44, v[5:6]
	s_delay_alu instid0(VALU_DEP_4)
	v_lshlrev_b64_e32 v[3:4], 4, v[3:4]
	v_add_co_u32 v32, vcc_lo, s10, v1
	s_wait_alu 0xfffd
	v_add_co_ci_u32_e32 v33, vcc_lo, s11, v2, vcc_lo
	v_mad_co_u64_u32 v[1:2], null, s5, v45, v[7:8]
	v_mov_b32_e32 v2, v12
	v_add_co_u32 v3, vcc_lo, v32, v3
	v_mov_b32_e32 v7, v13
	s_wait_alu 0xfffd
	v_add_co_ci_u32_e32 v4, vcc_lo, v33, v4, vcc_lo
	v_mov_b32_e32 v10, v1
	v_mad_co_u64_u32 v[12:13], null, s5, v47, v[2:3]
	v_lshlrev_b64_e32 v[5:6], 4, v[6:7]
	v_mov_b32_e32 v13, v18
	s_delay_alu instid0(VALU_DEP_4) | instskip(SKIP_1) | instid1(VALU_DEP_4)
	v_lshlrev_b64_e32 v[9:10], 4, v[9:10]
	v_add_nc_u32_e32 v34, 0xb4, v43
	v_add_co_u32 v5, vcc_lo, v32, v5
	v_lshlrev_b64_e32 v[11:12], 4, v[11:12]
	s_wait_alu 0xfffd
	v_add_co_ci_u32_e32 v6, vcc_lo, v33, v6, vcc_lo
	v_add_co_u32 v9, vcc_lo, v32, v9
	s_wait_alu 0xfffd
	v_add_co_ci_u32_e32 v10, vcc_lo, v33, v10, vcc_lo
	v_mad_co_u64_u32 v[13:14], null, s5, v48, v[13:14]
	v_add_co_u32 v14, vcc_lo, v32, v11
	v_mov_b32_e32 v11, v20
	s_wait_alu 0xfffd
	v_add_co_ci_u32_e32 v15, vcc_lo, v33, v12, vcc_lo
	s_clause 0x1
	global_load_b128 v[1:4], v[3:4], off
	global_load_b128 v[5:8], v[5:6], off
	s_wait_loadcnt 0x2
	v_mad_co_u64_u32 v[23:24], null, s5, v16, v[11:12]
	v_mad_co_u64_u32 v[24:25], null, s4, v28, 0
	v_add_nc_u32_e32 v26, 0x78, v43
	s_delay_alu instid0(VALU_DEP_3) | instskip(NEXT) | instid1(VALU_DEP_2)
	v_mov_b32_e32 v20, v23
	v_mad_co_u64_u32 v[21:22], null, s4, v26, 0
	s_delay_alu instid0(VALU_DEP_1) | instskip(SKIP_2) | instid1(VALU_DEP_2)
	v_mad_co_u64_u32 v[22:23], null, s5, v26, v[22:23]
	v_mov_b32_e32 v23, v25
	v_mad_co_u64_u32 v[26:27], null, s4, v31, 0
	v_mad_co_u64_u32 v[28:29], null, s5, v28, v[23:24]
	;; [unrolled: 1-line block ×3, first 2 shown]
	s_delay_alu instid0(VALU_DEP_3)
	v_dual_mov_b32 v18, v13 :: v_dual_mov_b32 v23, v27
	v_lshlrev_b64_e32 v[21:22], 4, v[21:22]
	s_clause 0x1
	global_load_b128 v[9:12], v[9:10], off
	global_load_b128 v[13:16], v[14:15], off
	v_mov_b32_e32 v25, v28
	v_lshlrev_b64_e32 v[17:18], 4, v[17:18]
	v_mad_co_u64_u32 v[27:28], null, s5, v31, v[23:24]
	v_mov_b32_e32 v23, v30
	v_lshlrev_b64_e32 v[19:20], 4, v[19:20]
	s_delay_alu instid0(VALU_DEP_4) | instskip(NEXT) | instid1(VALU_DEP_3)
	v_add_co_u32 v17, vcc_lo, v32, v17
	v_mad_co_u64_u32 v[30:31], null, s5, v34, v[23:24]
	s_wait_alu 0xfffd
	v_add_co_ci_u32_e32 v18, vcc_lo, v33, v18, vcc_lo
	s_delay_alu instid0(VALU_DEP_4)
	v_add_co_u32 v19, vcc_lo, v32, v19
	v_lshlrev_b64_e32 v[23:24], 4, v[24:25]
	s_wait_alu 0xfffd
	v_add_co_ci_u32_e32 v20, vcc_lo, v33, v20, vcc_lo
	v_add_co_u32 v21, vcc_lo, v32, v21
	v_lshlrev_b64_e32 v[25:26], 4, v[26:27]
	s_wait_alu 0xfffd
	v_add_co_ci_u32_e32 v22, vcc_lo, v33, v22, vcc_lo
	;; [unrolled: 4-line block ×3, first 2 shown]
	v_add_co_u32 v49, vcc_lo, v32, v25
	s_wait_alu 0xfffd
	v_add_co_ci_u32_e32 v50, vcc_lo, v33, v26, vcc_lo
	v_add_co_u32 v51, vcc_lo, v32, v27
	s_wait_alu 0xfffd
	v_add_co_ci_u32_e32 v52, vcc_lo, v33, v28, vcc_lo
	s_clause 0x5
	global_load_b128 v[33:36], v[17:18], off
	global_load_b128 v[37:40], v[19:20], off
	;; [unrolled: 1-line block ×6, first 2 shown]
.LBB0_14:
	s_wait_loadcnt 0x2
	v_add_f64_e32 v[49:50], v[31:32], v[39:40]
	s_wait_loadcnt 0x0
	v_add_f64_e32 v[51:52], v[23:24], v[15:16]
	v_add_f64_e32 v[53:54], v[29:30], v[37:38]
	v_add_f64_e32 v[55:56], v[21:22], v[13:14]
	v_add_f64_e64 v[57:58], v[13:14], -v[21:22]
	v_add_f64_e64 v[59:60], v[37:38], -v[29:30]
	;; [unrolled: 1-line block ×4, first 2 shown]
	s_mov_b32 s12, 0x134454ff
	s_mov_b32 s13, 0xbfee6f0e
	;; [unrolled: 1-line block ×3, first 2 shown]
	s_wait_alu 0xfffe
	s_mov_b32 s10, s12
	v_add_f64_e32 v[65:66], v[25:26], v[33:34]
	v_add_f64_e32 v[67:68], v[17:18], v[9:10]
	;; [unrolled: 1-line block ×4, first 2 shown]
	v_add_f64_e64 v[73:74], v[13:14], -v[37:38]
	v_add_f64_e64 v[75:76], v[21:22], -v[29:30]
	;; [unrolled: 1-line block ×8, first 2 shown]
	s_mov_b32 s16, 0x4755a5e
	s_mov_b32 s17, 0xbfe2cf23
	;; [unrolled: 1-line block ×3, first 2 shown]
	s_wait_alu 0xfffe
	s_mov_b32 s14, s16
	v_add_f64_e32 v[99:100], v[9:10], v[1:2]
	v_add_f64_e32 v[103:104], v[11:12], v[3:4]
	v_add_f64_e64 v[101:102], v[11:12], -v[19:20]
	v_add_f64_e64 v[105:106], v[9:10], -v[17:18]
	s_mov_b32 s18, 0x372fe950
	s_mov_b32 s19, 0x3fd3c6ef
	;; [unrolled: 1-line block ×4, first 2 shown]
	s_wait_alu 0xfffe
	s_mov_b32 s24, s18
	s_mov_b32 s21, 0x3fe9e377
	v_fma_f64 v[49:50], v[49:50], -0.5, v[7:8]
	v_fma_f64 v[51:52], v[51:52], -0.5, v[7:8]
	;; [unrolled: 1-line block ×4, first 2 shown]
	v_add_f64_e32 v[5:6], v[13:14], v[5:6]
	v_add_f64_e32 v[7:8], v[15:16], v[7:8]
	v_add_f64_e64 v[13:14], v[35:36], -v[27:28]
	v_add_f64_e64 v[15:16], v[33:34], -v[25:26]
	s_mov_b32 s23, 0xbfe9e377
	s_mov_b32 s22, s20
	v_mul_lo_u16 v46, v43, 26
	v_cmp_gt_u64_e32 vcc_lo, s[28:29], v[41:42]
	v_fma_f64 v[65:66], v[65:66], -0.5, v[1:2]
	v_fma_f64 v[1:2], v[67:68], -0.5, v[1:2]
	;; [unrolled: 1-line block ×4, first 2 shown]
	v_add_f64_e32 v[69:70], v[75:76], v[73:74]
	s_or_b32 s28, s30, vcc_lo
	v_add_f64_e32 v[71:72], v[79:80], v[77:78]
	v_add_f64_e32 v[73:74], v[83:84], v[81:82]
	v_add_f64_e64 v[81:82], v[9:10], -v[33:34]
	v_add_f64_e32 v[75:76], v[87:88], v[85:86]
	v_add_f64_e64 v[9:10], v[33:34], -v[9:10]
	v_add_f64_e64 v[83:84], v[11:12], -v[35:36]
	v_add_f64_e64 v[11:12], v[35:36], -v[11:12]
	v_add_f64_e64 v[85:86], v[17:18], -v[25:26]
	v_add_f64_e32 v[33:34], v[33:34], v[99:100]
	v_add_f64_e32 v[35:36], v[35:36], v[103:104]
	v_add_f64_e64 v[87:88], v[25:26], -v[17:18]
	v_fma_f64 v[89:90], v[57:58], s[10:11], v[49:50]
	v_fma_f64 v[91:92], v[59:60], s[12:13], v[51:52]
	;; [unrolled: 1-line block ×8, first 2 shown]
	v_add_f64_e32 v[5:6], v[37:38], v[5:6]
	v_add_f64_e32 v[7:8], v[39:40], v[7:8]
	v_fma_f64 v[37:38], v[101:102], s[12:13], v[65:66]
	v_fma_f64 v[39:40], v[101:102], s[10:11], v[65:66]
	;; [unrolled: 1-line block ×4, first 2 shown]
	v_add_f64_e32 v[25:26], v[25:26], v[33:34]
	v_add_f64_e32 v[9:10], v[87:88], v[9:10]
	v_fma_f64 v[77:78], v[59:60], s[14:15], v[89:90]
	v_fma_f64 v[79:80], v[57:58], s[14:15], v[91:92]
	v_fma_f64 v[51:52], v[57:58], s[16:17], v[51:52]
	v_fma_f64 v[57:58], v[63:64], s[16:17], v[93:94]
	v_fma_f64 v[49:50], v[59:60], s[16:17], v[49:50]
	v_fma_f64 v[59:60], v[61:62], s[16:17], v[95:96]
	v_add_f64_e64 v[89:90], v[19:20], -v[27:28]
	v_add_f64_e64 v[91:92], v[27:28], -v[19:20]
	v_fma_f64 v[93:94], v[105:106], s[10:11], v[67:68]
	v_fma_f64 v[95:96], v[15:16], s[12:13], v[3:4]
	;; [unrolled: 1-line block ×6, first 2 shown]
	v_add_f64_e32 v[27:28], v[27:28], v[35:36]
	v_add_f64_e32 v[5:6], v[29:30], v[5:6]
	;; [unrolled: 1-line block ×3, first 2 shown]
	v_fma_f64 v[29:30], v[13:14], s[16:17], v[37:38]
	v_fma_f64 v[13:14], v[13:14], s[14:15], v[39:40]
	;; [unrolled: 1-line block ×4, first 2 shown]
	v_add_f64_e32 v[17:18], v[17:18], v[25:26]
	v_fma_f64 v[61:62], v[73:74], s[18:19], v[77:78]
	v_fma_f64 v[63:64], v[75:76], s[18:19], v[79:80]
	;; [unrolled: 1-line block ×6, first 2 shown]
	v_add_f64_e32 v[73:74], v[85:86], v[81:82]
	v_add_f64_e32 v[75:76], v[89:90], v[83:84]
	;; [unrolled: 1-line block ×3, first 2 shown]
	v_fma_f64 v[33:34], v[15:16], s[14:15], v[93:94]
	v_fma_f64 v[35:36], v[105:106], s[14:15], v[95:96]
	;; [unrolled: 1-line block ×6, first 2 shown]
	v_add_f64_e32 v[19:20], v[19:20], v[27:28]
	v_add_f64_e32 v[21:22], v[21:22], v[5:6]
	;; [unrolled: 1-line block ×3, first 2 shown]
	v_mul_f64_e32 v[53:54], s[16:17], v[61:62]
	v_mul_f64_e32 v[55:56], s[12:13], v[63:64]
	;; [unrolled: 1-line block ×8, first 2 shown]
	v_fma_f64 v[26:27], v[73:74], s[18:19], v[29:30]
	v_fma_f64 v[30:31], v[9:10], s[18:19], v[31:32]
	;; [unrolled: 1-line block ×8, first 2 shown]
	v_add_f64_e32 v[2:3], v[21:22], v[17:18]
	v_add_f64_e32 v[4:5], v[23:24], v[19:20]
	v_add_f64_e64 v[6:7], v[17:18], -v[21:22]
	v_add_f64_e64 v[8:9], v[19:20], -v[23:24]
	v_lshlrev_b32_e32 v1, 4, v98
	s_wait_alu 0xfffe
	v_fma_f64 v[34:35], v[57:58], s[20:21], v[53:54]
	v_fma_f64 v[53:54], v[59:60], s[18:19], v[55:56]
	;; [unrolled: 1-line block ×8, first 2 shown]
	v_and_b32_e32 v63, 0xff, v44
	v_and_b32_e32 v64, 0xff, v45
	;; [unrolled: 1-line block ×4, first 2 shown]
	v_lshrrev_b16 v67, 8, v46
	v_mul_u32_u24_e32 v38, 0x640, v43
	s_delay_alu instid0(VALU_DEP_4) | instskip(NEXT) | instid1(VALU_DEP_2)
	v_mul_lo_u16 v46, 0xcd, v65
	v_add3_u32 v38, 0, v38, v1
	s_delay_alu instid0(VALU_DEP_2) | instskip(NEXT) | instid1(VALU_DEP_1)
	v_lshrrev_b16 v68, 11, v46
	v_and_b32_e32 v42, 0xffff, v68
	v_add_f64_e32 v[10:11], v[26:27], v[34:35]
	v_add_f64_e32 v[14:15], v[30:31], v[53:54]
	;; [unrolled: 1-line block ×8, first 2 shown]
	v_add_f64_e64 v[26:27], v[26:27], -v[34:35]
	v_add_f64_e64 v[49:50], v[28:29], -v[57:58]
	;; [unrolled: 1-line block ×8, first 2 shown]
	v_mul_lo_u16 v39, 0xcd, v63
	v_mul_lo_u16 v40, 0xcd, v64
	;; [unrolled: 1-line block ×3, first 2 shown]
	ds_store_b128 v38, v[2:5]
	ds_store_b128 v38, v[10:13] offset:160
	ds_store_b128 v38, v[14:17] offset:320
	ds_store_b128 v38, v[18:21] offset:480
	ds_store_b128 v38, v[22:25] offset:640
	ds_store_b128 v38, v[6:9] offset:800
	ds_store_b128 v38, v[26:29] offset:960
	ds_store_b128 v38, v[30:33] offset:1120
	ds_store_b128 v38, v[34:37] offset:1280
	ds_store_b128 v38, v[49:52] offset:1440
	v_lshrrev_b16 v65, 11, v39
	v_mul_lo_u16 v39, v67, 10
	v_lshrrev_b16 v66, 11, v40
	v_lshrrev_b16 v69, 11, v53
	v_mul_lo_u16 v53, v68, 10
	v_mul_lo_u16 v40, v65, 10
	v_sub_nc_u16 v39, v43, v39
	v_mul_lo_u16 v46, v66, 10
	v_mul_lo_u16 v54, v69, 10
	global_wb scope:SCOPE_SE
	s_wait_dscnt 0x0
	v_sub_nc_u16 v40, v44, v40
	v_and_b32_e32 v70, 0xff, v39
	v_sub_nc_u16 v46, v45, v46
	v_sub_nc_u16 v39, v47, v53
	;; [unrolled: 1-line block ×3, first 2 shown]
	v_and_b32_e32 v71, 0xff, v40
	v_lshlrev_b32_e32 v40, 4, v70
	v_and_b32_e32 v72, 0xff, v46
	v_and_b32_e32 v73, 0xff, v39
	v_and_b32_e32 v74, 0xff, v53
	v_lshlrev_b32_e32 v39, 4, v71
	s_wait_kmcnt 0x0
	s_barrier_signal -1
	s_barrier_wait -1
	global_inv scope:SCOPE_SE
	s_clause 0x1
	global_load_b128 v[2:5], v40, s[26:27]
	global_load_b128 v[6:9], v39, s[26:27]
	v_lshlrev_b32_e32 v46, 4, v72
	v_lshlrev_b32_e32 v14, 4, v73
	;; [unrolled: 1-line block ×3, first 2 shown]
	s_clause 0x2
	global_load_b128 v[10:13], v46, s[26:27]
	global_load_b128 v[14:17], v14, s[26:27]
	;; [unrolled: 1-line block ×3, first 2 shown]
	v_mad_i32_i24 v46, 0xfffffa60, v43, v38
	ds_load_b128 v[22:25], v46 offset:16000
	ds_load_b128 v[26:29], v46 offset:19200
	;; [unrolled: 1-line block ×5, first 2 shown]
	ds_load_b128 v[53:56], v46
	v_mad_u32_u24 v42, v42, 20, v73
	s_delay_alu instid0(VALU_DEP_1) | instskip(NEXT) | instid1(VALU_DEP_1)
	v_mul_u32_u24_e32 v42, 0xa0, v42
	v_add3_u32 v42, 0, v42, v1
	s_wait_loadcnt_dscnt 0x405
	v_mul_f64_e32 v[38:39], v[24:25], v[4:5]
	v_mul_f64_e32 v[4:5], v[22:23], v[4:5]
	s_wait_loadcnt_dscnt 0x304
	v_mul_f64_e32 v[57:58], v[28:29], v[8:9]
	v_mul_f64_e32 v[8:9], v[26:27], v[8:9]
	;; [unrolled: 3-line block ×5, first 2 shown]
	v_fma_f64 v[22:23], v[22:23], v[2:3], v[38:39]
	v_fma_f64 v[24:25], v[24:25], v[2:3], -v[4:5]
	v_fma_f64 v[26:27], v[26:27], v[6:7], v[57:58]
	v_fma_f64 v[28:29], v[28:29], v[6:7], -v[8:9]
	v_mul_i32_i24_e32 v2, 0xa0, v44
	v_fma_f64 v[30:31], v[30:31], v[10:11], v[59:60]
	v_fma_f64 v[32:33], v[32:33], v[10:11], -v[12:13]
	v_fma_f64 v[34:35], v[34:35], v[14:15], v[61:62]
	v_fma_f64 v[57:58], v[36:37], v[14:15], -v[16:17]
	v_fma_f64 v[49:50], v[49:50], v[18:19], v[63:64]
	v_fma_f64 v[51:52], v[51:52], v[18:19], -v[20:21]
	v_mul_i32_i24_e32 v3, 0xa0, v45
	v_mul_i32_i24_e32 v4, 0xa0, v47
	v_add3_u32 v39, 0, v2, v1
	v_mul_i32_i24_e32 v6, 0xa0, v48
	v_and_b32_e32 v36, 0xffff, v66
	v_add3_u32 v40, 0, v3, v1
	v_add3_u32 v37, 0, v4, v1
	ds_load_b128 v[2:5], v39
	v_add3_u32 v38, 0, v6, v1
	ds_load_b128 v[6:9], v40
	ds_load_b128 v[10:13], v37
	;; [unrolled: 1-line block ×3, first 2 shown]
	v_and_b32_e32 v44, 0xffff, v69
	v_mad_u32_u24 v36, v36, 20, v72
	global_wb scope:SCOPE_SE
	s_wait_dscnt 0x0
	s_barrier_signal -1
	s_barrier_wait -1
	v_mad_u32_u24 v44, v44, 20, v74
	v_mul_u32_u24_e32 v36, 0xa0, v36
	global_inv scope:SCOPE_SE
	v_mul_u32_u24_e32 v44, 0xa0, v44
	v_add3_u32 v36, 0, v36, v1
	v_add_f64_e64 v[18:19], v[53:54], -v[22:23]
	v_add_f64_e64 v[20:21], v[55:56], -v[24:25]
	;; [unrolled: 1-line block ×10, first 2 shown]
	v_and_b32_e32 v34, 0xffff, v67
	v_and_b32_e32 v35, 0xffff, v65
	s_delay_alu instid0(VALU_DEP_2) | instskip(NEXT) | instid1(VALU_DEP_2)
	v_mad_u32_u24 v34, v34, 20, v70
	v_mad_u32_u24 v35, v35, 20, v71
	s_delay_alu instid0(VALU_DEP_2) | instskip(NEXT) | instid1(VALU_DEP_2)
	v_mul_u32_u24_e32 v34, 0xa0, v34
	v_mul_u32_u24_e32 v35, 0xa0, v35
	s_delay_alu instid0(VALU_DEP_2) | instskip(NEXT) | instid1(VALU_DEP_2)
	v_add3_u32 v34, 0, v34, v1
	v_add3_u32 v35, 0, v35, v1
	v_add3_u32 v1, 0, v44, v1
	v_fma_f64 v[51:52], v[53:54], 2.0, -v[18:19]
	v_fma_f64 v[53:54], v[55:56], 2.0, -v[20:21]
	;; [unrolled: 1-line block ×10, first 2 shown]
	ds_store_b128 v34, v[51:54]
	ds_store_b128 v34, v[18:21] offset:1600
	ds_store_b128 v35, v[2:5]
	ds_store_b128 v35, v[22:25] offset:1600
	;; [unrolled: 2-line block ×5, first 2 shown]
	global_wb scope:SCOPE_SE
	s_wait_dscnt 0x0
	s_barrier_signal -1
	s_barrier_wait -1
	global_inv scope:SCOPE_SE
	s_and_saveexec_b32 s29, s28
	s_cbranch_execz .LBB0_16
; %bb.15:
	v_mul_lo_u16 v1, v43, 13
	s_load_b64 s[0:1], s[0:1], 0x8
	s_delay_alu instid0(VALU_DEP_1) | instskip(NEXT) | instid1(VALU_DEP_1)
	v_lshrrev_b16 v1, 8, v1
	v_mul_lo_u16 v1, v1, 20
	s_delay_alu instid0(VALU_DEP_1) | instskip(NEXT) | instid1(VALU_DEP_1)
	v_sub_nc_u16 v1, v43, v1
	v_and_b32_e32 v99, 0xff, v1
	s_delay_alu instid0(VALU_DEP_1) | instskip(SKIP_3) | instid1(VALU_DEP_4)
	v_mul_u32_u24_e32 v1, 9, v99
	v_mul_lo_u32 v164, v41, v99
	v_add_nc_u32_e32 v44, 0xb4, v99
	v_add_nc_u32_e32 v63, 0x78, v99
	v_lshlrev_b32_e32 v21, 4, v1
	s_clause 0x8
	global_load_b128 v[29:32], v21, s[26:27] offset:176
	global_load_b128 v[33:36], v21, s[26:27] offset:272
	global_load_b128 v[9:12], v21, s[26:27] offset:208
	global_load_b128 v[17:20], v21, s[26:27] offset:240
	global_load_b128 v[13:16], v21, s[26:27] offset:224
	global_load_b128 v[5:8], v21, s[26:27] offset:256
	global_load_b128 v[1:4], v21, s[26:27] offset:192
	global_load_b128 v[25:28], v21, s[26:27] offset:288
	global_load_b128 v[21:24], v21, s[26:27] offset:160
	v_and_b32_e32 v42, 0xff, v164
	v_lshrrev_b32_e32 v43, 4, v164
	v_mul_lo_u32 v148, v41, v44
	v_mul_lo_u32 v177, v41, v63
	s_delay_alu instid0(VALU_DEP_4) | instskip(NEXT) | instid1(VALU_DEP_4)
	v_lshlrev_b32_e32 v42, 4, v42
	v_and_b32_e32 v43, 0xff0, v43
	s_wait_kmcnt 0x0
	s_clause 0x1
	global_load_b128 v[47:50], v42, s[0:1]
	global_load_b128 v[51:54], v43, s[0:1] offset:4096
	v_and_b32_e32 v42, 0xff, v148
	v_lshrrev_b32_e32 v43, 4, v148
	v_lshrrev_b32_e32 v67, 4, v177
	s_delay_alu instid0(VALU_DEP_3) | instskip(NEXT) | instid1(VALU_DEP_3)
	v_lshlrev_b32_e32 v42, 4, v42
	v_and_b32_e32 v43, 0xff0, v43
	s_clause 0x1
	global_load_b128 v[55:58], v42, s[0:1]
	global_load_b128 v[59:62], v43, s[0:1] offset:4096
	v_or_b32_e32 v42, 0xa0, v99
	v_and_b32_e32 v67, 0xff0, v67
	s_delay_alu instid0(VALU_DEP_2) | instskip(NEXT) | instid1(VALU_DEP_1)
	v_mul_lo_u32 v149, v41, v42
	v_and_b32_e32 v42, 0xff, v149
	v_lshrrev_b32_e32 v43, 4, v149
	s_delay_alu instid0(VALU_DEP_2) | instskip(NEXT) | instid1(VALU_DEP_2)
	v_lshlrev_b32_e32 v42, 4, v42
	v_and_b32_e32 v43, 0xff0, v43
	s_clause 0x1
	global_load_b128 v[94:97], v42, s[0:1]
	global_load_b128 v[100:103], v43, s[0:1] offset:4096
	v_add_nc_u32_e32 v42, 0x8c, v99
	s_delay_alu instid0(VALU_DEP_1) | instskip(NEXT) | instid1(VALU_DEP_1)
	v_mul_lo_u32 v176, v41, v42
	v_and_b32_e32 v42, 0xff, v176
	v_lshrrev_b32_e32 v43, 4, v176
	s_delay_alu instid0(VALU_DEP_2) | instskip(NEXT) | instid1(VALU_DEP_2)
	v_lshlrev_b32_e32 v42, 4, v42
	v_and_b32_e32 v43, 0xff0, v43
	s_clause 0x1
	global_load_b128 v[104:107], v42, s[0:1]
	global_load_b128 v[108:111], v43, s[0:1] offset:4096
	ds_load_b128 v[42:45], v40
	ds_load_b128 v[112:115], v39
	ds_load_b128 v[63:66], v46 offset:25600
	v_and_b32_e32 v40, 0xff, v177
	s_delay_alu instid0(VALU_DEP_1)
	v_lshlrev_b32_e32 v68, 4, v40
	s_clause 0x1
	global_load_b128 v[116:119], v68, s[0:1]
	global_load_b128 v[120:123], v67, s[0:1] offset:4096
	ds_load_b128 v[67:70], v38
	ds_load_b128 v[90:93], v46 offset:28800
	v_add_nc_u32_e32 v38, 0x64, v99
	ds_load_b128 v[74:77], v46 offset:19200
	ds_load_b128 v[84:87], v37
	ds_load_b128 v[78:81], v46 offset:16000
	ds_load_b128 v[124:127], v46 offset:22400
	v_mul_lo_u32 v180, v41, v38
	s_delay_alu instid0(VALU_DEP_1) | instskip(SKIP_1) | instid1(VALU_DEP_2)
	v_and_b32_e32 v37, 0xff, v180
	v_lshrrev_b32_e32 v38, 4, v180
	v_lshlrev_b32_e32 v73, 4, v37
	s_delay_alu instid0(VALU_DEP_2)
	v_and_b32_e32 v132, 0xff0, v38
	s_clause 0x1
	global_load_b128 v[128:131], v73, s[0:1]
	global_load_b128 v[132:135], v132, s[0:1] offset:4096
	s_wait_loadcnt_dscnt 0x1408
	v_mul_f64_e32 v[39:40], v[42:43], v[31:32]
	v_mul_f64_e32 v[31:32], v[44:45], v[31:32]
	s_wait_loadcnt_dscnt 0x1306
	v_mul_f64_e32 v[71:72], v[63:64], v[35:36]
	v_mul_f64_e32 v[35:36], v[65:66], v[35:36]
	;; [unrolled: 3-line block ×4, first 2 shown]
	v_fma_f64 v[39:40], v[44:45], v[29:30], -v[39:40]
	v_fma_f64 v[37:38], v[42:43], v[29:30], v[31:32]
	ds_load_b128 v[29:32], v46
	v_fma_f64 v[42:43], v[63:64], v[33:34], v[35:36]
	v_add_nc_u32_e32 v35, 0x50, v99
	v_fma_f64 v[44:45], v[65:66], v[33:34], -v[71:72]
	v_fma_f64 v[66:67], v[67:68], v[9:10], v[11:12]
	s_wait_loadcnt_dscnt 0x1002
	v_mul_f64_e32 v[33:34], v[80:81], v[15:16]
	v_mul_f64_e32 v[15:16], v[78:79], v[15:16]
	v_mul_lo_u32 v46, v41, v35
	v_fma_f64 v[72:73], v[69:70], v[9:10], -v[82:83]
	s_wait_loadcnt_dscnt 0xf01
	v_mul_f64_e32 v[9:10], v[126:127], v[7:8]
	v_mul_f64_e32 v[7:8], v[124:125], v[7:8]
	v_fma_f64 v[82:83], v[76:77], v[17:18], -v[88:89]
	v_fma_f64 v[68:69], v[74:75], v[17:18], v[19:20]
	v_add_nc_u32_e32 v17, 60, v99
	v_add_nc_u32_e32 v19, 40, v99
	v_and_b32_e32 v11, 0xff, v46
	v_lshrrev_b32_e32 v12, 4, v46
	s_delay_alu instid0(VALU_DEP_4)
	v_mul_lo_u32 v20, v41, v17
	s_wait_loadcnt 0xc
	v_mul_f64_e32 v[17:18], v[114:115], v[23:24]
	v_lshlrev_b32_e32 v11, 4, v11
	v_and_b32_e32 v12, 0xff0, v12
	s_clause 0x1
	global_load_b128 v[136:139], v11, s[0:1]
	global_load_b128 v[140:143], v12, s[0:1] offset:4096
	v_mul_f64_e32 v[11:12], v[86:87], v[3:4]
	v_mul_f64_e32 v[3:4], v[84:85], v[3:4]
	v_mul_lo_u32 v19, v41, v19
	v_fma_f64 v[78:79], v[78:79], v[13:14], v[33:34]
	v_fma_f64 v[70:71], v[80:81], v[13:14], -v[15:16]
	v_mul_f64_e32 v[13:14], v[92:93], v[27:28]
	v_mul_f64_e32 v[15:16], v[90:91], v[27:28]
	v_fma_f64 v[88:89], v[124:125], v[5:6], v[9:10]
	v_fma_f64 v[80:81], v[126:127], v[5:6], -v[7:8]
	v_mul_f64_e32 v[5:6], v[112:113], v[23:24]
	v_and_b32_e32 v7, 0xff, v20
	v_lshrrev_b32_e32 v8, 4, v20
	v_add_nc_u32_e32 v10, 20, v99
	v_and_b32_e32 v9, 0xff, v19
	s_delay_alu instid0(VALU_DEP_4) | instskip(NEXT) | instid1(VALU_DEP_4)
	v_lshlrev_b32_e32 v7, 4, v7
	v_and_b32_e32 v8, 0xff0, v8
	s_delay_alu instid0(VALU_DEP_4) | instskip(NEXT) | instid1(VALU_DEP_4)
	v_mul_lo_u32 v41, v41, v10
	v_lshlrev_b32_e32 v9, 4, v9
	s_clause 0x1
	global_load_b128 v[124:127], v7, s[0:1]
	global_load_b128 v[144:147], v8, s[0:1] offset:4096
	v_lshrrev_b32_e32 v7, 4, v19
	v_lshrrev_b32_e32 v8, 12, v148
	v_fma_f64 v[76:77], v[84:85], v[1:2], v[11:12]
	v_fma_f64 v[74:75], v[86:87], v[1:2], -v[3:4]
	s_wait_loadcnt 0xe
	v_mul_f64_e32 v[1:2], v[49:50], v[53:54]
	v_and_b32_e32 v7, 0xff0, v7
	v_lshrrev_b32_e32 v11, 12, v149
	s_clause 0x1
	global_load_b128 v[148:151], v9, s[0:1]
	global_load_b128 v[152:155], v7, s[0:1] offset:4096
	v_and_b32_e32 v9, 0xff, v41
	v_and_b32_e32 v8, 0xff0, v8
	;; [unrolled: 1-line block ×3, first 2 shown]
	v_mul_f64_e32 v[3:4], v[47:48], v[53:54]
	s_wait_loadcnt 0x8
	v_mul_f64_e32 v[11:12], v[116:117], v[122:123]
	s_clause 0x1
	global_load_b128 v[156:159], v8, s[0:1] offset:8192
	global_load_b128 v[33:36], v7, s[0:1] offset:8192
	v_mul_f64_e32 v[7:8], v[55:56], v[61:62]
	v_fma_f64 v[86:87], v[90:91], v[25:26], v[13:14]
	v_fma_f64 v[84:85], v[92:93], v[25:26], -v[15:16]
	v_fma_f64 v[92:93], v[112:113], v[21:22], v[17:18]
	s_wait_loadcnt 0x8
	v_mul_f64_e32 v[15:16], v[128:129], v[134:135]
	v_fma_f64 v[90:91], v[114:115], v[21:22], -v[5:6]
	v_mul_f64_e32 v[5:6], v[57:58], v[61:62]
	v_fma_f64 v[168:169], v[47:48], v[51:52], -v[1:2]
	v_lshrrev_b32_e32 v1, 4, v41
	v_lshlrev_b32_e32 v2, 4, v9
	v_mul_f64_e32 v[9:10], v[118:119], v[122:123]
	s_delay_alu instid0(VALU_DEP_3)
	v_and_b32_e32 v1, 0xff0, v1
	s_clause 0x1
	global_load_b128 v[112:115], v2, s[0:1]
	global_load_b128 v[160:163], v1, s[0:1] offset:4096
	v_lshrrev_b32_e32 v1, 12, v164
	v_fma_f64 v[170:171], v[49:50], v[51:52], v[3:4]
	v_mul_f64_e32 v[3:4], v[94:95], v[102:103]
	v_fma_f64 v[174:175], v[57:58], v[59:60], v[7:8]
	v_mul_f64_e32 v[7:8], v[104:105], v[110:111]
	v_and_b32_e32 v1, 0xff0, v1
	global_load_b128 v[164:167], v1, s[0:1] offset:8192
	v_mul_f64_e32 v[1:2], v[96:97], v[102:103]
	v_fma_f64 v[172:173], v[55:56], v[59:60], -v[5:6]
	v_lshrrev_b32_e32 v5, 12, v176
	v_lshrrev_b32_e32 v6, 12, v177
	v_fma_f64 v[54:55], v[118:119], v[120:121], v[11:12]
	v_fma_f64 v[56:57], v[130:131], v[132:133], v[15:16]
	s_delay_alu instid0(VALU_DEP_4) | instskip(NEXT) | instid1(VALU_DEP_4)
	v_and_b32_e32 v5, 0xff0, v5
	v_and_b32_e32 v6, 0xff0, v6
	v_fma_f64 v[178:179], v[96:97], v[100:101], v[3:4]
	v_fma_f64 v[62:63], v[106:107], v[108:109], v[7:8]
	v_fma_f64 v[176:177], v[94:95], v[100:101], -v[1:2]
	s_clause 0x1
	global_load_b128 v[21:24], v5, s[0:1] offset:8192
	global_load_b128 v[1:4], v6, s[0:1] offset:8192
	v_mul_f64_e32 v[5:6], v[106:107], v[110:111]
	v_mad_co_u64_u32 v[106:107], null, s6, v98, 0
	s_delay_alu instid0(VALU_DEP_2) | instskip(SKIP_3) | instid1(VALU_DEP_3)
	v_fma_f64 v[64:65], v[104:105], v[108:109], -v[5:6]
	v_lshrrev_b32_e32 v5, 12, v180
	v_lshrrev_b32_e32 v6, 12, v46
	v_fma_f64 v[46:47], v[116:117], v[120:121], -v[9:10]
	v_and_b32_e32 v5, 0xff0, v5
	s_delay_alu instid0(VALU_DEP_3) | instskip(SKIP_4) | instid1(VALU_DEP_1)
	v_and_b32_e32 v13, 0xff0, v6
	s_clause 0x1
	global_load_b128 v[5:8], v5, s[0:1] offset:8192
	global_load_b128 v[9:12], v13, s[0:1] offset:8192
	v_mul_f64_e32 v[13:14], v[130:131], v[134:135]
	v_fma_f64 v[48:49], v[128:129], v[132:133], -v[13:14]
	v_add_f64_e32 v[133:134], v[66:67], v[68:69]
	v_add_f64_e32 v[131:132], v[37:38], v[42:43]
	v_lshrrev_b32_e32 v13, 12, v20
	v_lshrrev_b32_e32 v14, 12, v19
	s_delay_alu instid0(VALU_DEP_2) | instskip(NEXT) | instid1(VALU_DEP_2)
	v_and_b32_e32 v13, 0xff0, v13
	v_and_b32_e32 v17, 0xff0, v14
	s_clause 0x1
	global_load_b128 v[13:16], v13, s[0:1] offset:8192
	global_load_b128 v[17:20], v17, s[0:1] offset:8192
	s_wait_dscnt 0x0
	v_fma_f64 v[131:132], v[131:132], -0.5, v[29:30]
	s_wait_loadcnt 0xf
	v_mul_f64_e32 v[25:26], v[138:139], v[142:143]
	v_mul_f64_e32 v[27:28], v[136:137], v[142:143]
	v_add_f64_e64 v[142:143], v[80:81], -v[84:85]
	s_delay_alu instid0(VALU_DEP_3) | instskip(SKIP_2) | instid1(VALU_DEP_4)
	v_fma_f64 v[50:51], v[136:137], v[140:141], -v[25:26]
	s_wait_loadcnt 0xd
	v_mul_f64_e32 v[25:26], v[126:127], v[146:147]
	v_fma_f64 v[58:59], v[138:139], v[140:141], v[27:28]
	v_mul_f64_e32 v[27:28], v[124:125], v[146:147]
	v_add_f64_e64 v[135:136], v[82:83], -v[44:45]
	v_add_f64_e64 v[146:147], v[44:45], -v[82:83]
	s_wait_loadcnt 0xb
	v_mul_f64_e32 v[94:95], v[150:151], v[154:155]
	v_mul_f64_e32 v[96:97], v[148:149], v[154:155]
	s_wait_loadcnt 0xa
	v_mul_f64_e32 v[118:119], v[172:173], v[158:159]
	s_wait_loadcnt 0x9
	v_mul_f64_e32 v[120:121], v[178:179], v[35:36]
	v_mul_f64_e32 v[35:36], v[176:177], v[35:36]
	;; [unrolled: 1-line block ×3, first 2 shown]
	v_fma_f64 v[52:53], v[124:125], v[144:145], -v[25:26]
	v_and_b32_e32 v25, 0xffff, v0
	v_lshrrev_b32_e32 v26, 12, v41
	v_mov_b32_e32 v41, v107
	v_fma_f64 v[60:61], v[126:127], v[144:145], v[27:28]
	v_add_f64_e64 v[144:145], v[68:69], -v[42:43]
	v_mul_u32_u24_e32 v25, 0x148, v25
	v_fma_f64 v[94:95], v[148:149], v[152:153], -v[94:95]
	v_add_f64_e64 v[148:149], v[86:87], -v[88:89]
	v_fma_f64 v[96:97], v[150:151], v[152:153], v[96:97]
	v_add_f64_e64 v[150:151], v[84:85], -v[80:81]
	v_lshrrev_b32_e32 v104, 16, v25
	s_wait_loadcnt 0x7
	v_mul_f64_e32 v[102:103], v[112:113], v[162:163]
	v_mul_f64_e32 v[100:101], v[114:115], v[162:163]
	v_add_f64_e32 v[152:153], v[70:71], v[80:81]
	v_fma_f64 v[120:121], v[33:34], v[176:177], -v[120:121]
	v_mul_lo_u16 v107, 0xc8, v104
	v_mad_co_u64_u32 v[104:105], null, s7, v98, v[41:42]
	v_fma_f64 v[33:34], v[33:34], v[178:179], v[35:36]
	v_add_f64_e32 v[35:36], v[72:73], v[82:83]
	s_delay_alu instid0(VALU_DEP_4)
	v_sub_nc_u16 v41, v0, v107
	v_and_b32_e32 v26, 0xff0, v26
	s_wait_loadcnt 0x6
	v_mul_f64_e32 v[110:111], v[168:169], v[166:167]
	v_mul_f64_e32 v[108:109], v[170:171], v[166:167]
	v_mov_b32_e32 v107, v104
	v_and_b32_e32 v41, 0xffff, v41
	global_load_b128 v[25:28], v26, s[0:1] offset:8192
	s_lshl_b64 s[0:1], s[8:9], 4
	v_fma_f64 v[118:119], v[156:157], v[174:175], v[118:119]
	s_add_nc_u64 s[0:1], s[2:3], s[0:1]
	v_sub_nc_u32_e32 v0, v0, v41
	v_fma_f64 v[116:117], v[156:157], v[172:173], -v[116:117]
	s_delay_alu instid0(VALU_DEP_2) | instskip(NEXT) | instid1(VALU_DEP_1)
	v_add_nc_u32_e32 v154, v0, v99
	v_add_nc_u32_e32 v124, 20, v154
	;; [unrolled: 1-line block ×5, first 2 shown]
	s_delay_alu instid0(VALU_DEP_1)
	v_mad_co_u64_u32 v[122:123], null, s4, v129, 0
	v_fma_f64 v[104:105], v[114:115], v[160:161], v[102:103]
	v_mad_co_u64_u32 v[102:103], null, s4, v124, 0
	v_fma_f64 v[98:99], v[112:113], v[160:161], -v[100:101]
	v_mad_co_u64_u32 v[112:113], null, s4, v126, 0
	v_mad_co_u64_u32 v[114:115], null, s4, v127, 0
	;; [unrolled: 1-line block ×3, first 2 shown]
	v_mov_b32_e32 v0, v103
	v_fma_f64 v[152:153], v[152:153], -0.5, v[90:91]
	v_mov_b32_e32 v41, v113
	v_fma_f64 v[110:111], v[164:165], v[170:171], v[110:111]
	v_mov_b32_e32 v103, v115
	s_wait_loadcnt 0x5
	v_mad_co_u64_u32 v[124:125], null, s5, v124, v[0:1]
	v_mov_b32_e32 v0, v101
	v_mad_co_u64_u32 v[125:126], null, s5, v126, v[41:42]
	v_mov_b32_e32 v41, v123
	v_fma_f64 v[108:109], v[164:165], v[168:169], -v[108:109]
	s_delay_alu instid0(VALU_DEP_3)
	v_mov_b32_e32 v113, v125
	v_mad_co_u64_u32 v[126:127], null, s5, v127, v[103:104]
	v_mad_co_u64_u32 v[127:128], null, s5, v154, v[0:1]
	v_mov_b32_e32 v103, v124
	v_add_f64_e32 v[124:125], v[39:40], v[44:45]
	v_mad_co_u64_u32 v[128:129], null, s5, v129, v[41:42]
	v_mov_b32_e32 v115, v126
	v_add_nc_u32_e32 v41, 0x64, v154
	v_mov_b32_e32 v101, v127
	v_add_f64_e64 v[126:127], v[72:73], -v[39:40]
	s_delay_alu instid0(VALU_DEP_3) | instskip(NEXT) | instid1(VALU_DEP_1)
	v_mad_co_u64_u32 v[129:130], null, s4, v41, 0
	v_dual_mov_b32 v123, v128 :: v_dual_mov_b32 v0, v130
	s_delay_alu instid0(VALU_DEP_1) | instskip(SKIP_1) | instid1(VALU_DEP_1)
	v_mad_co_u64_u32 v[137:138], null, s5, v41, v[0:1]
	v_add_nc_u32_e32 v41, 0x78, v154
	v_mad_co_u64_u32 v[138:139], null, s4, v41, 0
	s_delay_alu instid0(VALU_DEP_3) | instskip(NEXT) | instid1(VALU_DEP_2)
	v_mov_b32_e32 v130, v137
	v_mov_b32_e32 v0, v139
	v_fma_f64 v[124:125], v[124:125], -0.5, v[31:32]
	s_delay_alu instid0(VALU_DEP_2)
	v_mad_co_u64_u32 v[139:140], null, s5, v41, v[0:1]
	v_add_f64_e32 v[140:141], v[31:32], v[39:40]
	v_fma_f64 v[31:32], v[35:36], -0.5, v[31:32]
	v_fma_f64 v[35:36], v[133:134], -0.5, v[29:30]
	v_add_f64_e64 v[133:134], v[78:79], -v[76:77]
	v_add_f64_e32 v[126:127], v[126:127], v[135:136]
	v_add_f64_e64 v[135:136], v[88:89], -v[86:87]
	v_add_f64_e32 v[29:30], v[29:30], v[37:38]
	v_add_f64_e32 v[140:141], v[140:141], v[72:73]
	s_delay_alu instid0(VALU_DEP_3) | instskip(SKIP_1) | instid1(VALU_DEP_4)
	v_add_f64_e32 v[133:134], v[133:134], v[135:136]
	v_add_f64_e64 v[135:136], v[70:71], -v[74:75]
	v_add_f64_e32 v[29:30], v[29:30], v[66:67]
	s_delay_alu instid0(VALU_DEP_2) | instskip(SKIP_1) | instid1(VALU_DEP_3)
	v_add_f64_e32 v[135:136], v[135:136], v[142:143]
	v_add_f64_e64 v[142:143], v[66:67], -v[37:38]
	v_add_f64_e32 v[29:30], v[29:30], v[68:69]
	s_delay_alu instid0(VALU_DEP_2)
	v_add_f64_e32 v[142:143], v[142:143], v[144:145]
	v_add_f64_e64 v[144:145], v[39:40], -v[72:73]
	v_add_f64_e64 v[72:73], v[72:73], -v[82:83]
	v_add_f64_e32 v[82:83], v[140:141], v[82:83]
	v_add_f64_e32 v[140:141], v[76:77], v[86:87]
	v_add_f64_e64 v[39:40], v[39:40], -v[44:45]
	v_add_f64_e32 v[29:30], v[29:30], v[42:43]
	v_add_f64_e32 v[144:145], v[144:145], v[146:147]
	v_add_f64_e64 v[146:147], v[76:77], -v[78:79]
	v_add_f64_e32 v[44:45], v[82:83], v[44:45]
	v_fma_f64 v[140:141], v[140:141], -0.5, v[92:93]
	s_delay_alu instid0(VALU_DEP_3) | instskip(SKIP_1) | instid1(VALU_DEP_1)
	v_add_f64_e32 v[146:147], v[146:147], v[148:149]
	v_add_f64_e64 v[148:149], v[74:75], -v[70:71]
	v_add_f64_e32 v[148:149], v[148:149], v[150:151]
	v_add_f64_e32 v[150:151], v[78:79], v[88:89]
	s_delay_alu instid0(VALU_DEP_1) | instskip(SKIP_1) | instid1(VALU_DEP_1)
	v_fma_f64 v[150:151], v[150:151], -0.5, v[92:93]
	v_add_f64_e32 v[92:93], v[92:93], v[76:77]
	v_add_f64_e32 v[92:93], v[92:93], v[78:79]
	v_add_f64_e64 v[78:79], v[78:79], -v[88:89]
	s_delay_alu instid0(VALU_DEP_2) | instskip(SKIP_1) | instid1(VALU_DEP_1)
	v_add_f64_e32 v[88:89], v[92:93], v[88:89]
	v_add_f64_e32 v[92:93], v[74:75], v[84:85]
	v_fma_f64 v[92:93], v[92:93], -0.5, v[90:91]
	v_add_f64_e32 v[90:91], v[90:91], v[74:75]
	v_add_f64_e64 v[74:75], v[74:75], -v[84:85]
	s_delay_alu instid0(VALU_DEP_2) | instskip(SKIP_1) | instid1(VALU_DEP_2)
	v_add_f64_e32 v[90:91], v[90:91], v[70:71]
	v_add_f64_e64 v[70:71], v[70:71], -v[80:81]
	v_add_f64_e32 v[80:81], v[90:91], v[80:81]
	v_add_f64_e64 v[90:91], v[66:67], -v[68:69]
	v_add_f64_e64 v[66:67], v[37:38], -v[66:67]
	;; [unrolled: 1-line block ×5, first 2 shown]
	v_add_nc_u32_e32 v43, 0x8c, v154
	v_add_f64_e32 v[76:77], v[80:81], v[84:85]
	v_fma_f64 v[80:81], v[90:91], s[10:11], v[124:125]
	v_fma_f64 v[82:83], v[90:91], s[12:13], v[124:125]
	v_add_f64_e32 v[66:67], v[66:67], v[68:69]
	v_add_f64_e32 v[68:69], v[88:89], v[86:87]
	v_fma_f64 v[84:85], v[37:38], s[12:13], v[31:32]
	v_fma_f64 v[31:32], v[37:38], s[10:11], v[31:32]
	;; [unrolled: 1-line block ×35, first 2 shown]
	v_lshlrev_b64_e32 v[80:81], 4, v[106:107]
	v_fma_f64 v[90:91], v[148:149], s[18:19], v[90:91]
	v_fma_f64 v[78:79], v[148:149], s[18:19], v[78:79]
	;; [unrolled: 1-line block ×4, first 2 shown]
	v_add_co_u32 v137, vcc_lo, s0, v80
	s_wait_alu 0xfffd
	v_add_co_ci_u32_e32 v140, vcc_lo, s1, v81, vcc_lo
	v_fma_f64 v[80:81], v[133:134], s[18:19], v[82:83]
	v_mad_co_u64_u32 v[82:83], null, s4, v43, 0
	s_delay_alu instid0(VALU_DEP_1) | instskip(NEXT) | instid1(VALU_DEP_1)
	v_dual_mov_b32 v0, v83 :: v_dual_add_nc_u32 v83, 0xb4, v154
	v_mad_co_u64_u32 v[106:107], null, s5, v43, v[0:1]
	v_add_nc_u32_e32 v43, 0xa0, v154
	s_delay_alu instid0(VALU_DEP_1)
	v_mad_co_u64_u32 v[126:127], null, s4, v43, 0
	v_fma_f64 v[86:87], v[135:136], s[18:19], v[86:87]
	v_fma_f64 v[41:42], v[135:136], s[18:19], v[41:42]
	;; [unrolled: 1-line block ×4, first 2 shown]
	v_mad_co_u64_u32 v[131:132], null, s4, v83, 0
	v_mov_b32_e32 v0, v127
	v_add_f64_e64 v[135:136], v[29:30], -v[68:69]
	v_add_f64_e32 v[29:30], v[29:30], v[68:69]
	v_add_f64_e64 v[68:69], v[44:45], -v[76:77]
	s_delay_alu instid0(VALU_DEP_4) | instskip(SKIP_2) | instid1(VALU_DEP_2)
	v_mad_co_u64_u32 v[127:128], null, s5, v43, v[0:1]
	v_mov_b32_e32 v0, v132
	v_add_f64_e32 v[43:44], v[44:45], v[76:77]
	v_mad_co_u64_u32 v[132:133], null, s5, v83, v[0:1]
	v_mov_b32_e32 v83, v106
	s_wait_loadcnt 0x4
	v_mul_f64_e32 v[106:107], v[48:49], v[7:8]
	v_mul_f64_e32 v[7:8], v[56:57], v[7:8]
	s_delay_alu instid0(VALU_DEP_3)
	v_lshlrev_b64_e32 v[82:83], 4, v[82:83]
	v_mul_f64_e32 v[133:134], s[24:25], v[86:87]
	v_mul_f64_e32 v[86:87], s[12:13], v[86:87]
	;; [unrolled: 1-line block ×4, first 2 shown]
	v_fma_f64 v[92:93], v[142:143], s[18:19], v[92:93]
	v_fma_f64 v[39:40], v[142:143], s[18:19], v[39:40]
	;; [unrolled: 1-line block ×4, first 2 shown]
	v_mul_f64_e32 v[86:87], s[20:21], v[78:79]
	v_mul_f64_e32 v[78:79], s[16:17], v[78:79]
	v_fma_f64 v[66:67], v[74:75], s[18:19], v[66:67]
	v_fma_f64 v[41:42], v[74:75], s[10:11], v[41:42]
	v_mul_f64_e32 v[74:75], s[22:23], v[90:91]
	v_mul_f64_e32 v[90:91], s[16:17], v[90:91]
	v_add_f64_e32 v[76:77], v[72:73], v[133:134]
	v_add_f64_e64 v[72:73], v[72:73], -v[133:134]
	v_fma_f64 v[86:87], v[70:71], s[14:15], v[86:87]
	v_fma_f64 v[70:71], v[70:71], s[20:21], v[78:79]
	v_mul_f64_e32 v[78:79], v[62:63], v[23:24]
	v_mul_f64_e32 v[23:24], v[64:65], v[23:24]
	v_fma_f64 v[74:75], v[88:89], s[14:15], v[74:75]
	v_fma_f64 v[88:89], v[88:89], s[22:23], v[90:91]
	v_mul_f64_e32 v[90:91], v[46:47], v[3:4]
	v_add_f64_e32 v[133:134], v[92:93], v[80:81]
	v_add_f64_e64 v[80:81], v[92:93], -v[80:81]
	v_add_f64_e32 v[92:93], v[37:38], v[41:42]
	v_add_f64_e64 v[37:38], v[37:38], -v[41:42]
	;; [unrolled: 2-line block ×3, first 2 shown]
	v_mul_f64_e32 v[3:4], v[54:55], v[3:4]
	v_add_f64_e64 v[39:40], v[31:32], -v[86:87]
	v_add_f64_e32 v[31:32], v[31:32], v[86:87]
	v_fma_f64 v[64:65], v[21:22], v[64:65], -v[78:79]
	v_fma_f64 v[21:22], v[21:22], v[62:63], v[23:24]
	s_wait_loadcnt 0x2
	v_mul_f64_e32 v[23:24], v[52:53], v[15:16]
	v_add_f64_e32 v[86:87], v[35:36], v[70:71]
	v_add_f64_e64 v[70:71], v[35:36], -v[70:71]
	v_add_f64_e64 v[35:36], v[84:85], -v[74:75]
	v_add_f64_e32 v[74:75], v[84:85], v[74:75]
	v_add_f64_e64 v[84:85], v[124:125], -v[88:89]
	v_add_f64_e32 v[88:89], v[124:125], v[88:89]
	s_wait_loadcnt 0x0
	v_mul_f64_e32 v[124:125], v[98:99], v[27:28]
	v_mul_f64_e32 v[78:79], v[50:51], v[11:12]
	;; [unrolled: 1-line block ×3, first 2 shown]
	v_fma_f64 v[90:91], v[1:2], v[54:55], v[90:91]
	v_fma_f64 v[54:55], v[5:6], v[56:57], v[106:107]
	v_mul_f64_e32 v[11:12], v[58:59], v[11:12]
	v_mul_f64_e32 v[15:16], v[60:61], v[15:16]
	;; [unrolled: 1-line block ×4, first 2 shown]
	v_fma_f64 v[45:46], v[1:2], v[46:47], -v[3:4]
	v_fma_f64 v[0:1], v[5:6], v[48:49], -v[7:8]
	v_mul_f64_e32 v[6:7], v[29:30], v[110:111]
	v_lshlrev_b64_e32 v[106:107], 4, v[129:130]
	v_fma_f64 v[23:24], v[13:14], v[60:61], v[23:24]
	v_fma_f64 v[60:61], v[25:26], v[104:105], v[124:125]
	;; [unrolled: 1-line block ×4, first 2 shown]
	v_lshlrev_b64_e32 v[78:79], 4, v[102:103]
	v_mul_f64_e32 v[2:3], v[135:136], v[54:55]
	v_fma_f64 v[47:48], v[9:10], v[50:51], -v[11:12]
	v_mul_f64_e32 v[4:5], v[68:69], v[54:55]
	v_mul_f64_e32 v[10:11], v[43:44], v[110:111]
	v_fma_f64 v[8:9], v[13:14], v[52:53], -v[15:16]
	v_fma_f64 v[12:13], v[17:18], v[94:95], -v[19:20]
	;; [unrolled: 1-line block ×3, first 2 shown]
	v_mul_f64_e32 v[51:52], v[84:85], v[118:119]
	v_mul_f64_e32 v[94:95], v[70:71], v[90:91]
	;; [unrolled: 1-line block ×6, first 2 shown]
	v_fma_f64 v[6:7], v[43:44], v[108:109], -v[6:7]
	v_lshlrev_b64_e32 v[62:63], 4, v[100:101]
	v_lshlrev_b64_e32 v[96:97], 4, v[112:113]
	;; [unrolled: 1-line block ×6, first 2 shown]
	v_add_co_u32 v62, vcc_lo, v137, v62
	s_wait_alu 0xfffd
	v_add_co_ci_u32_e32 v63, vcc_lo, v140, v63, vcc_lo
	v_add_co_u32 v78, vcc_lo, v137, v78
	s_wait_alu 0xfffd
	v_add_co_ci_u32_e32 v79, vcc_lo, v140, v79, vcc_lo
	v_mul_f64_e32 v[14:15], v[133:134], v[23:24]
	v_mul_f64_e32 v[18:19], v[76:77], v[23:24]
	v_add_co_u32 v96, vcc_lo, v137, v96
	s_wait_alu 0xfffd
	v_add_co_ci_u32_e32 v97, vcc_lo, v140, v97, vcc_lo
	v_mul_f64_e32 v[27:28], v[86:87], v[60:61]
	v_mul_f64_e32 v[49:50], v[31:32], v[60:61]
	;; [unrolled: 1-line block ×8, first 2 shown]
	v_fma_f64 v[2:3], v[68:69], v[0:1], -v[2:3]
	v_fma_f64 v[0:1], v[135:136], v[0:1], v[4:5]
	v_fma_f64 v[4:5], v[29:30], v[108:109], v[10:11]
	v_lshlrev_b64_e32 v[114:115], 4, v[131:132]
	v_fma_f64 v[10:11], v[76:77], v[8:9], -v[14:15]
	v_fma_f64 v[8:9], v[133:134], v[8:9], v[18:19]
	v_fma_f64 v[18:19], v[31:32], v[16:17], -v[27:28]
	v_fma_f64 v[16:17], v[86:87], v[16:17], v[49:50]
	;; [unrolled: 2-line block ×3, first 2 shown]
	v_fma_f64 v[22:23], v[35:36], v[116:117], -v[51:52]
	v_fma_f64 v[34:35], v[74:75], v[47:48], -v[60:61]
	v_fma_f64 v[32:33], v[88:89], v[47:48], v[55:56]
	v_fma_f64 v[30:31], v[37:38], v[64:65], -v[58:59]
	v_fma_f64 v[38:39], v[39:40], v[45:46], -v[94:95]
	v_fma_f64 v[36:37], v[70:71], v[45:46], v[90:91]
	v_fma_f64 v[28:29], v[66:67], v[64:65], v[20:21]
	v_fma_f64 v[26:27], v[72:73], v[120:121], -v[53:54]
	v_fma_f64 v[24:25], v[80:81], v[120:121], v[98:99]
	v_fma_f64 v[20:21], v[84:85], v[116:117], v[102:103]
	v_add_co_u32 v40, vcc_lo, v137, v100
	s_wait_alu 0xfffd
	v_add_co_ci_u32_e32 v41, vcc_lo, v140, v101, vcc_lo
	v_add_co_u32 v42, vcc_lo, v137, v104
	s_wait_alu 0xfffd
	v_add_co_ci_u32_e32 v43, vcc_lo, v140, v105, vcc_lo
	v_add_co_u32 v44, vcc_lo, v137, v106
	s_wait_alu 0xfffd
	v_add_co_ci_u32_e32 v45, vcc_lo, v140, v107, vcc_lo
	v_add_co_u32 v46, vcc_lo, v137, v110
	s_wait_alu 0xfffd
	v_add_co_ci_u32_e32 v47, vcc_lo, v140, v111, vcc_lo
	v_add_co_u32 v48, vcc_lo, v137, v82
	s_wait_alu 0xfffd
	v_add_co_ci_u32_e32 v49, vcc_lo, v140, v83, vcc_lo
	v_add_co_u32 v50, vcc_lo, v137, v112
	s_wait_alu 0xfffd
	v_add_co_ci_u32_e32 v51, vcc_lo, v140, v113, vcc_lo
	v_add_co_u32 v52, vcc_lo, v137, v114
	s_wait_alu 0xfffd
	v_add_co_ci_u32_e32 v53, vcc_lo, v140, v115, vcc_lo
	s_clause 0x9
	global_store_b128 v[62:63], v[4:7], off
	global_store_b128 v[78:79], v[16:19], off
	;; [unrolled: 1-line block ×10, first 2 shown]
.LBB0_16:
	s_nop 0
	s_sendmsg sendmsg(MSG_DEALLOC_VGPRS)
	s_endpgm
	.section	.rodata,"a",@progbits
	.p2align	6, 0x0
	.amdhsa_kernel fft_rtc_back_len200_factors_10_2_10_wgs_200_tpt_20_dim3_dp_ip_CI_sbcc_twdbase8_3step_dirReg
		.amdhsa_group_segment_fixed_size 0
		.amdhsa_private_segment_fixed_size 0
		.amdhsa_kernarg_size 88
		.amdhsa_user_sgpr_count 2
		.amdhsa_user_sgpr_dispatch_ptr 0
		.amdhsa_user_sgpr_queue_ptr 0
		.amdhsa_user_sgpr_kernarg_segment_ptr 1
		.amdhsa_user_sgpr_dispatch_id 0
		.amdhsa_user_sgpr_private_segment_size 0
		.amdhsa_wavefront_size32 1
		.amdhsa_uses_dynamic_stack 0
		.amdhsa_enable_private_segment 0
		.amdhsa_system_sgpr_workgroup_id_x 1
		.amdhsa_system_sgpr_workgroup_id_y 0
		.amdhsa_system_sgpr_workgroup_id_z 0
		.amdhsa_system_sgpr_workgroup_info 0
		.amdhsa_system_vgpr_workitem_id 0
		.amdhsa_next_free_vgpr 181
		.amdhsa_next_free_sgpr 31
		.amdhsa_reserve_vcc 1
		.amdhsa_float_round_mode_32 0
		.amdhsa_float_round_mode_16_64 0
		.amdhsa_float_denorm_mode_32 3
		.amdhsa_float_denorm_mode_16_64 3
		.amdhsa_fp16_overflow 0
		.amdhsa_workgroup_processor_mode 1
		.amdhsa_memory_ordered 1
		.amdhsa_forward_progress 0
		.amdhsa_round_robin_scheduling 0
		.amdhsa_exception_fp_ieee_invalid_op 0
		.amdhsa_exception_fp_denorm_src 0
		.amdhsa_exception_fp_ieee_div_zero 0
		.amdhsa_exception_fp_ieee_overflow 0
		.amdhsa_exception_fp_ieee_underflow 0
		.amdhsa_exception_fp_ieee_inexact 0
		.amdhsa_exception_int_div_zero 0
	.end_amdhsa_kernel
	.text
.Lfunc_end0:
	.size	fft_rtc_back_len200_factors_10_2_10_wgs_200_tpt_20_dim3_dp_ip_CI_sbcc_twdbase8_3step_dirReg, .Lfunc_end0-fft_rtc_back_len200_factors_10_2_10_wgs_200_tpt_20_dim3_dp_ip_CI_sbcc_twdbase8_3step_dirReg
                                        ; -- End function
	.section	.AMDGPU.csdata,"",@progbits
; Kernel info:
; codeLenInByte = 8996
; NumSgprs: 33
; NumVgprs: 181
; ScratchSize: 0
; MemoryBound: 1
; FloatMode: 240
; IeeeMode: 1
; LDSByteSize: 0 bytes/workgroup (compile time only)
; SGPRBlocks: 4
; VGPRBlocks: 22
; NumSGPRsForWavesPerEU: 33
; NumVGPRsForWavesPerEU: 181
; Occupancy: 8
; WaveLimiterHint : 1
; COMPUTE_PGM_RSRC2:SCRATCH_EN: 0
; COMPUTE_PGM_RSRC2:USER_SGPR: 2
; COMPUTE_PGM_RSRC2:TRAP_HANDLER: 0
; COMPUTE_PGM_RSRC2:TGID_X_EN: 1
; COMPUTE_PGM_RSRC2:TGID_Y_EN: 0
; COMPUTE_PGM_RSRC2:TGID_Z_EN: 0
; COMPUTE_PGM_RSRC2:TIDIG_COMP_CNT: 0
	.text
	.p2alignl 7, 3214868480
	.fill 96, 4, 3214868480
	.type	__hip_cuid_1276a293cdbf9885,@object ; @__hip_cuid_1276a293cdbf9885
	.section	.bss,"aw",@nobits
	.globl	__hip_cuid_1276a293cdbf9885
__hip_cuid_1276a293cdbf9885:
	.byte	0                               ; 0x0
	.size	__hip_cuid_1276a293cdbf9885, 1

	.ident	"AMD clang version 19.0.0git (https://github.com/RadeonOpenCompute/llvm-project roc-6.4.0 25133 c7fe45cf4b819c5991fe208aaa96edf142730f1d)"
	.section	".note.GNU-stack","",@progbits
	.addrsig
	.addrsig_sym __hip_cuid_1276a293cdbf9885
	.amdgpu_metadata
---
amdhsa.kernels:
  - .args:
      - .actual_access:  read_only
        .address_space:  global
        .offset:         0
        .size:           8
        .value_kind:     global_buffer
      - .address_space:  global
        .offset:         8
        .size:           8
        .value_kind:     global_buffer
      - .actual_access:  read_only
        .address_space:  global
        .offset:         16
        .size:           8
        .value_kind:     global_buffer
      - .actual_access:  read_only
        .address_space:  global
        .offset:         24
        .size:           8
        .value_kind:     global_buffer
      - .offset:         32
        .size:           8
        .value_kind:     by_value
      - .actual_access:  read_only
        .address_space:  global
        .offset:         40
        .size:           8
        .value_kind:     global_buffer
      - .actual_access:  read_only
        .address_space:  global
        .offset:         48
        .size:           8
        .value_kind:     global_buffer
      - .offset:         56
        .size:           4
        .value_kind:     by_value
      - .actual_access:  read_only
        .address_space:  global
        .offset:         64
        .size:           8
        .value_kind:     global_buffer
      - .actual_access:  read_only
        .address_space:  global
        .offset:         72
        .size:           8
        .value_kind:     global_buffer
      - .address_space:  global
        .offset:         80
        .size:           8
        .value_kind:     global_buffer
    .group_segment_fixed_size: 0
    .kernarg_segment_align: 8
    .kernarg_segment_size: 88
    .language:       OpenCL C
    .language_version:
      - 2
      - 0
    .max_flat_workgroup_size: 200
    .name:           fft_rtc_back_len200_factors_10_2_10_wgs_200_tpt_20_dim3_dp_ip_CI_sbcc_twdbase8_3step_dirReg
    .private_segment_fixed_size: 0
    .sgpr_count:     33
    .sgpr_spill_count: 0
    .symbol:         fft_rtc_back_len200_factors_10_2_10_wgs_200_tpt_20_dim3_dp_ip_CI_sbcc_twdbase8_3step_dirReg.kd
    .uniform_work_group_size: 1
    .uses_dynamic_stack: false
    .vgpr_count:     181
    .vgpr_spill_count: 0
    .wavefront_size: 32
    .workgroup_processor_mode: 1
amdhsa.target:   amdgcn-amd-amdhsa--gfx1201
amdhsa.version:
  - 1
  - 2
...

	.end_amdgpu_metadata
